;; amdgpu-corpus repo=ROCm/rocFFT kind=compiled arch=gfx950 opt=O3
	.text
	.amdgcn_target "amdgcn-amd-amdhsa--gfx950"
	.amdhsa_code_object_version 6
	.protected	fft_rtc_back_len70_factors_2_5_7_wgs_252_tpt_14_halfLds_half_op_CI_CI_unitstride_sbrr_dirReg ; -- Begin function fft_rtc_back_len70_factors_2_5_7_wgs_252_tpt_14_halfLds_half_op_CI_CI_unitstride_sbrr_dirReg
	.globl	fft_rtc_back_len70_factors_2_5_7_wgs_252_tpt_14_halfLds_half_op_CI_CI_unitstride_sbrr_dirReg
	.p2align	8
	.type	fft_rtc_back_len70_factors_2_5_7_wgs_252_tpt_14_halfLds_half_op_CI_CI_unitstride_sbrr_dirReg,@function
fft_rtc_back_len70_factors_2_5_7_wgs_252_tpt_14_halfLds_half_op_CI_CI_unitstride_sbrr_dirReg: ; @fft_rtc_back_len70_factors_2_5_7_wgs_252_tpt_14_halfLds_half_op_CI_CI_unitstride_sbrr_dirReg
; %bb.0:
	s_load_dwordx4 s[4:7], s[0:1], 0x58
	s_load_dwordx4 s[8:11], s[0:1], 0x0
	;; [unrolled: 1-line block ×3, first 2 shown]
	v_mul_u32_u24_e32 v1, 0x124a, v0
	v_lshrrev_b32_e32 v2, 16, v1
	v_mad_u64_u32 v[8:9], s[2:3], s2, 18, v[2:3]
	v_mov_b32_e32 v4, 0
	v_mov_b32_e32 v9, v4
	s_waitcnt lgkmcnt(0)
	v_cmp_lt_u64_e64 s[2:3], s[10:11], 2
	v_mov_b64_e32 v[10:11], 0
	s_and_b64 vcc, exec, s[2:3]
	v_mov_b64_e32 v[2:3], v[10:11]
	v_mov_b64_e32 v[6:7], v[8:9]
	s_cbranch_vccnz .LBB0_8
; %bb.1:
	s_load_dwordx2 s[2:3], s[0:1], 0x10
	s_add_u32 s16, s14, 8
	s_addc_u32 s17, s15, 0
	s_add_u32 s18, s12, 8
	s_addc_u32 s19, s13, 0
	s_waitcnt lgkmcnt(0)
	s_add_u32 s20, s2, 8
	v_mov_b64_e32 v[10:11], 0
	s_addc_u32 s21, s3, 0
	s_mov_b64 s[22:23], 1
	v_mov_b64_e32 v[2:3], v[10:11]
	v_mov_b64_e32 v[12:13], v[8:9]
.LBB0_2:                                ; =>This Inner Loop Header: Depth=1
	s_load_dwordx2 s[24:25], s[20:21], 0x0
                                        ; implicit-def: $vgpr6_vgpr7
	s_waitcnt lgkmcnt(0)
	v_or_b32_e32 v5, s25, v13
	v_cmp_ne_u64_e32 vcc, 0, v[4:5]
	s_and_saveexec_b64 s[2:3], vcc
	s_xor_b64 s[26:27], exec, s[2:3]
	s_cbranch_execz .LBB0_4
; %bb.3:                                ;   in Loop: Header=BB0_2 Depth=1
	v_cvt_f32_u32_e32 v1, s24
	v_cvt_f32_u32_e32 v5, s25
	s_sub_u32 s2, 0, s24
	s_subb_u32 s3, 0, s25
	v_fmac_f32_e32 v1, 0x4f800000, v5
	v_rcp_f32_e32 v1, v1
	s_nop 0
	v_mul_f32_e32 v1, 0x5f7ffffc, v1
	v_mul_f32_e32 v5, 0x2f800000, v1
	v_trunc_f32_e32 v5, v5
	v_fmac_f32_e32 v1, 0xcf800000, v5
	v_cvt_u32_f32_e32 v5, v5
	v_cvt_u32_f32_e32 v1, v1
	v_mul_lo_u32 v6, s2, v5
	v_mul_hi_u32 v9, s2, v1
	v_mul_lo_u32 v7, s3, v1
	v_add_u32_e32 v9, v9, v6
	v_mul_lo_u32 v16, s2, v1
	v_add_u32_e32 v9, v9, v7
	v_mul_hi_u32 v6, v1, v16
	v_mul_hi_u32 v15, v1, v9
	v_mul_lo_u32 v14, v1, v9
	v_mov_b32_e32 v7, v4
	v_lshl_add_u64 v[6:7], v[6:7], 0, v[14:15]
	v_mul_hi_u32 v15, v5, v16
	v_mul_lo_u32 v16, v5, v16
	v_add_co_u32_e32 v6, vcc, v6, v16
	v_mul_hi_u32 v14, v5, v9
	s_nop 0
	v_addc_co_u32_e32 v6, vcc, v7, v15, vcc
	v_mov_b32_e32 v7, v4
	s_nop 0
	v_addc_co_u32_e32 v15, vcc, 0, v14, vcc
	v_mul_lo_u32 v14, v5, v9
	v_lshl_add_u64 v[6:7], v[6:7], 0, v[14:15]
	v_add_co_u32_e32 v1, vcc, v1, v6
	v_mul_lo_u32 v14, s2, v1
	s_nop 0
	v_addc_co_u32_e32 v5, vcc, v5, v7, vcc
	v_mul_lo_u32 v6, s2, v5
	v_mul_hi_u32 v7, s2, v1
	v_add_u32_e32 v6, v7, v6
	v_mul_lo_u32 v7, s3, v1
	v_add_u32_e32 v9, v6, v7
	v_mul_hi_u32 v17, v5, v14
	v_mul_lo_u32 v18, v5, v14
	v_mul_hi_u32 v7, v1, v9
	v_mul_lo_u32 v6, v1, v9
	v_mul_hi_u32 v14, v1, v14
	v_mov_b32_e32 v15, v4
	v_lshl_add_u64 v[6:7], v[14:15], 0, v[6:7]
	v_add_co_u32_e32 v6, vcc, v6, v18
	v_mul_hi_u32 v16, v5, v9
	s_nop 0
	v_addc_co_u32_e32 v6, vcc, v7, v17, vcc
	v_mul_lo_u32 v14, v5, v9
	s_nop 0
	v_addc_co_u32_e32 v15, vcc, 0, v16, vcc
	v_mov_b32_e32 v7, v4
	v_lshl_add_u64 v[6:7], v[6:7], 0, v[14:15]
	v_add_co_u32_e32 v1, vcc, v1, v6
	v_mul_hi_u32 v14, v12, v1
	s_nop 0
	v_addc_co_u32_e32 v5, vcc, v5, v7, vcc
	v_mad_u64_u32 v[6:7], s[2:3], v12, v5, 0
	v_mov_b32_e32 v15, v4
	v_lshl_add_u64 v[6:7], v[14:15], 0, v[6:7]
	v_mad_u64_u32 v[16:17], s[2:3], v13, v1, 0
	v_add_co_u32_e32 v1, vcc, v6, v16
	v_mad_u64_u32 v[14:15], s[2:3], v13, v5, 0
	s_nop 0
	v_addc_co_u32_e32 v6, vcc, v7, v17, vcc
	v_mov_b32_e32 v7, v4
	s_nop 0
	v_addc_co_u32_e32 v15, vcc, 0, v15, vcc
	v_lshl_add_u64 v[6:7], v[6:7], 0, v[14:15]
	v_mul_lo_u32 v1, s25, v6
	v_mul_lo_u32 v5, s24, v7
	v_mad_u64_u32 v[14:15], s[2:3], s24, v6, 0
	v_add3_u32 v1, v15, v5, v1
	v_sub_u32_e32 v5, v13, v1
	v_mov_b32_e32 v9, s25
	v_sub_co_u32_e32 v18, vcc, v12, v14
	v_lshl_add_u64 v[16:17], v[6:7], 0, 1
	s_nop 0
	v_subb_co_u32_e64 v5, s[2:3], v5, v9, vcc
	v_subrev_co_u32_e64 v9, s[2:3], s24, v18
	v_subb_co_u32_e32 v1, vcc, v13, v1, vcc
	s_nop 0
	v_subbrev_co_u32_e64 v5, s[2:3], 0, v5, s[2:3]
	v_cmp_le_u32_e64 s[2:3], s25, v5
	v_cmp_le_u32_e32 vcc, s25, v1
	s_nop 0
	v_cndmask_b32_e64 v14, 0, -1, s[2:3]
	v_cmp_le_u32_e64 s[2:3], s24, v9
	s_nop 1
	v_cndmask_b32_e64 v9, 0, -1, s[2:3]
	v_cmp_eq_u32_e64 s[2:3], s25, v5
	s_nop 1
	v_cndmask_b32_e64 v5, v14, v9, s[2:3]
	v_lshl_add_u64 v[14:15], v[6:7], 0, 2
	v_cmp_ne_u32_e64 s[2:3], 0, v5
	v_cndmask_b32_e64 v9, 0, -1, vcc
	v_cmp_le_u32_e32 vcc, s24, v18
	v_cndmask_b32_e64 v5, v17, v15, s[2:3]
	s_nop 0
	v_cndmask_b32_e64 v15, 0, -1, vcc
	v_cmp_eq_u32_e32 vcc, s25, v1
	s_nop 1
	v_cndmask_b32_e32 v1, v9, v15, vcc
	v_cmp_ne_u32_e32 vcc, 0, v1
	v_cndmask_b32_e64 v1, v16, v14, s[2:3]
	s_nop 0
	v_cndmask_b32_e32 v7, v7, v5, vcc
	v_cndmask_b32_e32 v6, v6, v1, vcc
.LBB0_4:                                ;   in Loop: Header=BB0_2 Depth=1
	s_andn2_saveexec_b64 s[2:3], s[26:27]
	s_cbranch_execz .LBB0_6
; %bb.5:                                ;   in Loop: Header=BB0_2 Depth=1
	v_cvt_f32_u32_e32 v1, s24
	s_sub_i32 s26, 0, s24
	v_rcp_iflag_f32_e32 v1, v1
	s_nop 0
	v_mul_f32_e32 v1, 0x4f7ffffe, v1
	v_cvt_u32_f32_e32 v1, v1
	v_mul_lo_u32 v5, s26, v1
	v_mul_hi_u32 v5, v1, v5
	v_add_u32_e32 v1, v1, v5
	v_mul_hi_u32 v1, v12, v1
	v_mul_lo_u32 v5, v1, s24
	v_sub_u32_e32 v5, v12, v5
	v_add_u32_e32 v6, 1, v1
	v_subrev_u32_e32 v7, s24, v5
	v_cmp_le_u32_e32 vcc, s24, v5
	s_nop 1
	v_cndmask_b32_e32 v5, v5, v7, vcc
	v_cndmask_b32_e32 v1, v1, v6, vcc
	v_add_u32_e32 v6, 1, v1
	v_cmp_le_u32_e32 vcc, s24, v5
	v_mov_b32_e32 v7, v4
	s_nop 0
	v_cndmask_b32_e32 v6, v1, v6, vcc
.LBB0_6:                                ;   in Loop: Header=BB0_2 Depth=1
	s_or_b64 exec, exec, s[2:3]
	v_mad_u64_u32 v[14:15], s[2:3], v6, s24, 0
	s_load_dwordx2 s[2:3], s[18:19], 0x0
	s_add_u32 s22, s22, 1
	v_mul_lo_u32 v1, v7, s24
	v_mul_lo_u32 v5, v6, s25
	s_load_dwordx2 s[24:25], s[16:17], 0x0
	s_addc_u32 s23, s23, 0
	v_add3_u32 v1, v15, v5, v1
	v_sub_co_u32_e32 v5, vcc, v12, v14
	s_add_u32 s16, s16, 8
	s_nop 0
	v_subb_co_u32_e32 v1, vcc, v13, v1, vcc
	s_addc_u32 s17, s17, 0
	s_waitcnt lgkmcnt(0)
	v_mul_lo_u32 v9, s2, v1
	v_mul_lo_u32 v12, s3, v5
	v_mad_u64_u32 v[10:11], s[2:3], s2, v5, v[10:11]
	s_add_u32 s18, s18, 8
	v_add3_u32 v11, v12, v11, v9
	s_addc_u32 s19, s19, 0
	v_mov_b64_e32 v[12:13], s[10:11]
	v_mul_lo_u32 v1, s24, v1
	v_mul_lo_u32 v9, s25, v5
	v_mad_u64_u32 v[2:3], s[2:3], s24, v5, v[2:3]
	s_add_u32 s20, s20, 8
	v_cmp_ge_u64_e32 vcc, s[22:23], v[12:13]
	v_add3_u32 v3, v9, v3, v1
	s_addc_u32 s21, s21, 0
	s_cbranch_vccnz .LBB0_8
; %bb.7:                                ;   in Loop: Header=BB0_2 Depth=1
	v_mov_b64_e32 v[12:13], v[6:7]
	s_branch .LBB0_2
.LBB0_8:
	s_load_dwordx2 s[0:1], s[0:1], 0x28
	s_lshl_b64 s[16:17], s[10:11], 3
	s_add_u32 s10, s14, s16
	s_addc_u32 s11, s15, s17
                                        ; implicit-def: $sgpr14
                                        ; implicit-def: $vgpr4
	s_waitcnt lgkmcnt(0)
	v_cmp_gt_u64_e32 vcc, s[0:1], v[6:7]
	v_cmp_le_u64_e64 s[0:1], s[0:1], v[6:7]
	s_and_saveexec_b64 s[2:3], s[0:1]
	s_xor_b64 s[0:1], exec, s[2:3]
; %bb.9:
	s_mov_b32 s2, 0x12492493
	v_mul_hi_u32 v1, v0, s2
	v_mul_u32_u24_e32 v1, 14, v1
	v_sub_u32_e32 v4, v0, v1
	s_mov_b32 s14, 0
                                        ; implicit-def: $vgpr0
                                        ; implicit-def: $vgpr10_vgpr11
; %bb.10:
	s_or_saveexec_b64 s[2:3], s[0:1]
	s_load_dwordx2 s[10:11], s[10:11], 0x0
	v_mov_b32_e32 v5, s14
	v_mov_b32_e32 v1, s14
                                        ; implicit-def: $vgpr15
                                        ; implicit-def: $vgpr12
                                        ; implicit-def: $vgpr17
                                        ; implicit-def: $vgpr13
                                        ; implicit-def: $vgpr18
                                        ; implicit-def: $vgpr14
                                        ; implicit-def: $vgpr19
                                        ; implicit-def: $vgpr16
                                        ; implicit-def: $vgpr9
                                        ; implicit-def: $vgpr20
	s_xor_b64 exec, exec, s[2:3]
	s_cbranch_execz .LBB0_14
; %bb.11:
	s_add_u32 s0, s12, s16
	s_addc_u32 s1, s13, s17
	s_load_dwordx2 s[0:1], s[0:1], 0x0
	s_mov_b32 s12, 0x12492493
                                        ; implicit-def: $vgpr20
                                        ; implicit-def: $vgpr9
	s_waitcnt lgkmcnt(0)
	v_mul_lo_u32 v1, s1, v6
	v_mul_lo_u32 v4, s0, v7
	v_mad_u64_u32 v[12:13], s[0:1], s0, v6, 0
	v_add3_u32 v13, v13, v4, v1
	v_mul_hi_u32 v1, v0, s12
	v_mul_u32_u24_e32 v1, 14, v1
	v_sub_u32_e32 v4, v0, v1
	v_lshl_add_u64 v[0:1], v[12:13], 2, s[4:5]
	v_lshl_add_u64 v[10:11], v[10:11], 2, v[0:1]
	v_lshlrev_b32_e32 v0, 2, v4
	v_mov_b32_e32 v1, 0
	v_lshl_add_u64 v[10:11], v[10:11], 0, v[0:1]
	global_load_dword v12, v[10:11], off
	global_load_dword v16, v[10:11], off offset:196
	global_load_dword v13, v[10:11], off offset:140
	global_load_dword v14, v[10:11], off offset:56
	v_cmp_gt_u32_e64 s[0:1], 7, v4
	v_mov_b32_e32 v5, v1
	s_and_saveexec_b64 s[4:5], s[0:1]
	s_cbranch_execz .LBB0_13
; %bb.12:
	global_load_dword v1, v[10:11], off offset:112
	global_load_dword v20, v[10:11], off offset:252
	s_waitcnt vmcnt(1)
	v_lshrrev_b32_e32 v5, 16, v1
	s_waitcnt vmcnt(0)
	v_lshrrev_b32_e32 v9, 16, v20
.LBB0_13:
	s_or_b64 exec, exec, s[4:5]
	s_waitcnt vmcnt(3)
	v_lshrrev_b32_e32 v15, 16, v12
	s_waitcnt vmcnt(1)
	v_lshrrev_b32_e32 v17, 16, v13
	;; [unrolled: 2-line block ×3, first 2 shown]
	v_lshrrev_b32_e32 v19, 16, v16
.LBB0_14:
	s_or_b64 exec, exec, s[2:3]
	s_mov_b32 s0, 0x38e38e39
	v_mul_hi_u32 v0, v8, s0
	v_lshrrev_b32_e32 v0, 2, v0
	v_mul_lo_u32 v0, v0, 18
	v_sub_u32_e32 v0, v8, v0
	v_sub_f16_e32 v13, v12, v13
	v_sub_f16_e32 v16, v14, v16
	v_mul_u32_u24_e32 v11, 0x46, v0
	v_fma_f16 v12, v12, 2.0, -v13
	v_fma_f16 v14, v14, 2.0, -v16
	v_lshl_add_u32 v10, v4, 2, 0
	v_sub_f16_e32 v0, v1, v20
	v_lshl_add_u32 v20, v11, 1, v10
	v_pack_b32_f16 v12, v12, v13
	v_pack_b32_f16 v13, v14, v16
	ds_write2_b32 v20, v12, v13 offset1:14
	v_add_u32_e32 v12, 28, v4
	v_lshlrev_b32_e32 v8, 1, v4
	v_add_u32_e32 v21, 56, v20
	v_cmp_gt_u32_e64 s[0:1], 7, v4
	v_lshlrev_b32_e32 v16, 2, v12
	v_lshlrev_b32_e32 v11, 1, v11
	s_and_saveexec_b64 s[2:3], s[0:1]
	s_cbranch_execz .LBB0_16
; %bb.15:
	v_fma_f16 v1, v1, 2.0, -v0
	s_mov_b32 s4, 0x5040100
	v_add3_u32 v12, 0, v16, v11
	v_perm_b32 v1, v0, v1, s4
	ds_write_b32 v12, v1
.LBB0_16:
	s_or_b64 exec, exec, s[2:3]
	v_sub_f16_e32 v17, v15, v17
	v_sub_f16_e32 v1, v5, v9
	v_add3_u32 v9, 0, v11, v8
	v_sub_u32_e32 v8, v10, v8
	v_fma_f16 v22, v15, 2.0, -v17
	s_waitcnt lgkmcnt(0)
	s_barrier
	v_add_u32_e32 v8, v8, v11
	ds_read_u16 v10, v9
	ds_read_u16 v15, v8 offset:28
	ds_read_u16 v14, v8 offset:56
	;; [unrolled: 1-line block ×4, first 2 shown]
	v_sub_f16_e32 v19, v18, v19
	v_fma_f16 v18, v18, 2.0, -v19
	v_pack_b32_f16 v17, v22, v17
	s_waitcnt lgkmcnt(0)
	s_barrier
	ds_write_b32 v20, v17
	v_pack_b32_f16 v17, v18, v19
	ds_write_b32 v21, v17
	s_and_saveexec_b64 s[2:3], s[0:1]
	s_cbranch_execz .LBB0_18
; %bb.17:
	v_fma_f16 v5, v5, 2.0, -v1
	s_mov_b32 s0, 0x5040100
	v_add3_u32 v16, 0, v16, v11
	v_perm_b32 v5, v1, v5, s0
	ds_write_b32 v16, v5
.LBB0_18:
	s_or_b64 exec, exec, s[2:3]
	v_and_b32_e32 v5, 1, v4
	v_lshlrev_b32_e32 v16, 4, v5
	s_waitcnt lgkmcnt(0)
	s_barrier
	global_load_dwordx4 v[24:27], v16, s[8:9]
	ds_read_u16 v18, v9
	ds_read_u16 v17, v8 offset:28
	ds_read_u16 v21, v8 offset:56
	;; [unrolled: 1-line block ×4, first 2 shown]
	v_lshrrev_b32_e32 v16, 1, v4
	v_mul_u32_u24_e32 v16, 10, v16
	v_or_b32_e32 v5, v16, v5
	v_lshlrev_b32_e32 v5, 1, v5
	v_add3_u32 v20, 0, v5, v11
	s_mov_b32 s5, 0xbb9c
	s_movk_i32 s13, 0x3b9c
	s_mov_b32 s4, 0xb8b4
	s_movk_i32 s14, 0x38b4
	s_movk_i32 s12, 0x34f2
	v_cmp_gt_u32_e64 s[0:1], 10, v4
	s_waitcnt lgkmcnt(0)
	s_barrier
	s_waitcnt vmcnt(0)
	v_mul_f16_sdwa v5, v17, v24 dst_sel:DWORD dst_unused:UNUSED_PAD src0_sel:DWORD src1_sel:WORD_1
	v_mul_f16_sdwa v11, v15, v24 dst_sel:DWORD dst_unused:UNUSED_PAD src0_sel:DWORD src1_sel:WORD_1
	;; [unrolled: 1-line block ×8, first 2 shown]
	v_fma_f16 v16, v15, v24, v5
	v_fma_f16 v19, v17, v24, -v11
	v_fma_f16 v17, v14, v25, v28
	v_fma_f16 v21, v21, v25, -v29
	v_fma_f16 v24, v13, v26, v30
	v_fma_f16 v25, v12, v27, v32
	v_fma_f16 v22, v22, v26, -v31
	v_fma_f16 v23, v23, v27, -v33
	v_add_f16_e32 v11, v17, v24
	v_add_f16_e32 v26, v16, v25
	;; [unrolled: 1-line block ×3, first 2 shown]
	v_sub_f16_e32 v12, v19, v23
	v_sub_f16_e32 v13, v21, v22
	;; [unrolled: 1-line block ×6, first 2 shown]
	v_fma_f16 v11, v11, -0.5, v10
	v_fma_f16 v10, v26, -0.5, v10
	v_add_f16_e32 v5, v5, v17
	v_add_f16_e32 v14, v14, v15
	;; [unrolled: 1-line block ×3, first 2 shown]
	v_fma_f16 v26, v12, s5, v11
	v_fma_f16 v11, v12, s13, v11
	v_fma_f16 v27, v13, s13, v10
	v_fma_f16 v10, v13, s5, v10
	v_add_f16_e32 v5, v5, v24
	v_fma_f16 v26, v13, s4, v26
	v_fma_f16 v13, v13, s14, v11
	;; [unrolled: 1-line block ×4, first 2 shown]
	v_add_f16_e32 v5, v5, v25
	v_fma_f16 v11, v14, s12, v26
	v_fma_f16 v14, v14, s12, v13
	v_fma_f16 v10, v15, s12, v27
	v_fma_f16 v13, v15, s12, v12
	ds_write_b16 v20, v5
	ds_write_b16 v20, v11 offset:4
	ds_write_b16 v20, v10 offset:8
	;; [unrolled: 1-line block ×4, first 2 shown]
	s_waitcnt lgkmcnt(0)
	s_barrier
	s_waitcnt lgkmcnt(0)
                                        ; implicit-def: $vgpr15
	s_and_saveexec_b64 s[2:3], s[0:1]
	s_cbranch_execz .LBB0_20
; %bb.19:
	ds_read_u16 v5, v9
	ds_read_u16 v11, v8 offset:20
	ds_read_u16 v10, v8 offset:40
	;; [unrolled: 1-line block ×6, first 2 shown]
.LBB0_20:
	s_or_b64 exec, exec, s[2:3]
	v_add_f16_e32 v26, v21, v22
	v_fma_f16 v26, v26, -0.5, v18
	v_sub_f16_e32 v25, v16, v25
	v_fma_f16 v16, v25, s13, v26
	v_sub_f16_e32 v24, v17, v24
	v_sub_f16_e32 v17, v19, v21
	v_sub_f16_e32 v27, v23, v22
	v_fma_f16 v26, v25, s5, v26
	v_fma_f16 v16, v24, s14, v16
	v_add_f16_e32 v17, v17, v27
	v_fma_f16 v26, v24, s4, v26
	v_add_f16_e32 v12, v18, v19
	v_fma_f16 v16, v17, s12, v16
	v_fma_f16 v17, v17, s12, v26
	v_add_f16_e32 v26, v19, v23
	v_add_f16_e32 v12, v12, v21
	v_fma_f16 v26, v26, -0.5, v18
	v_sub_f16_e32 v19, v21, v19
	v_sub_f16_e32 v21, v22, v23
	v_fma_f16 v18, v24, s5, v26
	v_add_f16_e32 v19, v19, v21
	v_fma_f16 v21, v24, s13, v26
	v_add_f16_e32 v12, v12, v22
	v_fma_f16 v18, v25, s14, v18
	v_fma_f16 v21, v25, s4, v21
	v_add_f16_e32 v12, v12, v23
	v_fma_f16 v18, v19, s12, v18
	v_fma_f16 v19, v19, s12, v21
	s_waitcnt lgkmcnt(0)
	s_barrier
	ds_write_b16 v20, v12
	ds_write_b16 v20, v16 offset:4
	ds_write_b16 v20, v18 offset:8
	;; [unrolled: 1-line block ×4, first 2 shown]
	s_waitcnt lgkmcnt(0)
	s_barrier
	s_waitcnt lgkmcnt(0)
                                        ; implicit-def: $vgpr20
	s_and_saveexec_b64 s[2:3], s[0:1]
	s_cbranch_execz .LBB0_22
; %bb.21:
	ds_read_u16 v12, v9
	ds_read_u16 v16, v8 offset:20
	ds_read_u16 v18, v8 offset:40
	;; [unrolled: 1-line block ×6, first 2 shown]
.LBB0_22:
	s_or_b64 exec, exec, s[2:3]
	v_cmp_gt_u32_e64 s[2:3], 10, v4
	s_and_b64 s[2:3], vcc, s[2:3]
	s_and_saveexec_b64 s[4:5], s[2:3]
	s_cbranch_execz .LBB0_24
; %bb.23:
	v_add_u32_e32 v8, -10, v4
	v_cndmask_b32_e64 v8, v8, v4, s[0:1]
	v_mul_i32_i24_e32 v8, 6, v8
	v_mov_b32_e32 v9, 0
	v_lshl_add_u64 v[26:27], v[8:9], 2, s[8:9]
	global_load_dwordx4 v[22:25], v[26:27], off offset:32
	global_load_dwordx2 v[28:29], v[26:27], off offset:48
	v_mul_lo_u32 v8, s11, v6
	v_mul_lo_u32 v21, s10, v7
	v_mad_u64_u32 v[6:7], s[0:1], s10, v6, 0
	v_add3_u32 v7, v7, v21, v8
	s_mov_b32 s0, 0xb574
	s_movk_i32 s2, 0x3a52
	s_mov_b32 s3, 0xbcab
	s_mov_b32 s4, 0xbb00
	;; [unrolled: 1-line block ×3, first 2 shown]
	s_movk_i32 s5, 0x3574
	s_waitcnt vmcnt(1) lgkmcnt(5)
	v_mul_f16_sdwa v8, v16, v22 dst_sel:DWORD dst_unused:UNUSED_PAD src0_sel:DWORD src1_sel:WORD_1
	s_waitcnt vmcnt(0) lgkmcnt(0)
	v_mul_f16_sdwa v21, v20, v29 dst_sel:DWORD dst_unused:UNUSED_PAD src0_sel:DWORD src1_sel:WORD_1
	v_mul_f16_sdwa v26, v17, v25 dst_sel:DWORD dst_unused:UNUSED_PAD src0_sel:DWORD src1_sel:WORD_1
	;; [unrolled: 1-line block ×11, first 2 shown]
	v_fma_f16 v8, v11, v22, v8
	v_fma_f16 v11, v15, v29, v21
	;; [unrolled: 1-line block ×6, first 2 shown]
	v_fma_f16 v19, v19, v24, -v34
	v_fma_f16 v17, v17, v25, -v35
	v_fma_f16 v1, v1, v28, -v36
	v_fma_f16 v18, v18, v23, -v37
	v_fma_f16 v15, v20, v29, -v32
	v_fma_f16 v16, v16, v22, -v33
	v_sub_f16_e32 v20, v8, v11
	v_sub_f16_e32 v21, v14, v13
	;; [unrolled: 1-line block ×3, first 2 shown]
	v_add_f16_e32 v25, v18, v1
	v_add_f16_e32 v8, v8, v11
	;; [unrolled: 1-line block ×4, first 2 shown]
	v_sub_f16_e32 v13, v17, v19
	v_sub_f16_e32 v1, v18, v1
	v_add_f16_e32 v23, v16, v15
	v_add_f16_e32 v24, v17, v19
	v_sub_f16_e32 v10, v16, v15
	v_sub_f16_e32 v15, v21, v22
	v_add_f16_e32 v27, v8, v0
	v_sub_f16_e32 v29, v13, v1
	v_sub_f16_e32 v14, v20, v21
	v_add_f16_e32 v16, v21, v22
	v_sub_f16_e32 v17, v23, v24
	v_add_f16_e32 v19, v23, v25
	v_sub_f16_e32 v21, v8, v11
	v_sub_f16_e32 v26, v11, v0
	;; [unrolled: 1-line block ×3, first 2 shown]
	v_mul_f16_e32 v15, 0x3846, v15
	v_add_f16_e32 v11, v11, v27
	v_mul_f16_e32 v27, 0x3846, v29
	v_sub_f16_e32 v18, v24, v25
	v_sub_f16_e32 v22, v22, v20
	v_add_f16_e32 v16, v20, v16
	v_mul_f16_e32 v20, 0x3a52, v17
	v_add_f16_e32 v19, v24, v19
	v_mul_f16_e32 v24, 0x3a52, v21
	v_fma_f16 v30, v14, s0, v15
	v_add_f16_e32 v31, v5, v11
	v_fma_f16 v5, v28, s0, v27
	v_sub_f16_e32 v23, v25, v23
	s_mov_b32 s0, 0xb9e0
	v_sub_f16_e32 v0, v0, v8
	v_add_f16_e32 v13, v13, v1
	v_mul_f16_e32 v18, 0x2b26, v18
	v_mul_f16_e32 v26, 0x2b26, v26
	v_add_f16_e32 v12, v12, v19
	v_fma_f16 v20, v23, s0, -v20
	v_fma_f16 v8, v0, s0, -v24
	v_sub_f16_e32 v1, v1, v10
	s_movk_i32 s0, 0x39e0
	v_add_f16_e32 v13, v10, v13
	v_mul_f16_e32 v29, 0xbb00, v22
	v_fma_f16 v17, v17, s2, v18
	v_fma_f16 v19, v19, s3, v12
	;; [unrolled: 1-line block ×3, first 2 shown]
	v_mul_f16_e32 v10, 0xbb00, v1
	v_fma_f16 v18, v23, s0, -v18
	v_fma_f16 v15, v22, s4, -v15
	;; [unrolled: 1-line block ×4, first 2 shown]
	v_fma_f16 v21, v21, s2, v26
	v_fma_f16 v14, v14, s5, -v29
	v_fma_f16 v10, v28, s5, -v10
	v_add_f16_e32 v18, v18, v19
	v_fma_f16 v15, v16, s1, v15
	v_fma_f16 v1, v13, s1, v1
	v_add_f16_e32 v0, v0, v11
	v_fma_f16 v29, v16, s1, v30
	v_fma_f16 v5, v13, s1, v5
	v_add_f16_e32 v17, v17, v19
	v_add_f16_e32 v21, v21, v11
	v_fma_f16 v14, v16, s1, v14
	v_add_f16_e32 v8, v8, v11
	v_fma_f16 v10, v13, s1, v10
	v_sub_f16_e32 v16, v18, v15
	v_add_f16_e32 v11, v1, v0
	v_add_f16_e32 v13, v15, v18
	v_sub_f16_e32 v15, v0, v1
	v_lshl_add_u64 v[0:1], v[6:7], 2, s[6:7]
	v_add_f16_e32 v30, v29, v17
	v_sub_f16_e32 v32, v21, v5
	v_sub_f16_e32 v24, v8, v10
	v_add_f16_e32 v8, v10, v8
	v_sub_f16_e32 v10, v17, v29
	v_add_f16_e32 v17, v5, v21
	v_mov_b32_e32 v5, v9
	v_lshl_add_u64 v[0:1], v[2:3], 2, v[0:1]
	v_add_f16_e32 v20, v20, v19
	v_lshl_add_u64 v[0:1], v[4:5], 2, v[0:1]
	v_pack_b32_f16 v2, v31, v12
	v_add_f16_e32 v25, v14, v20
	v_sub_f16_e32 v14, v20, v14
	global_store_dword v[0:1], v2, off
	v_pack_b32_f16 v2, v17, v10
	global_store_dword v[0:1], v2, off offset:40
	v_pack_b32_f16 v2, v8, v14
	global_store_dword v[0:1], v2, off offset:80
	;; [unrolled: 2-line block ×6, first 2 shown]
.LBB0_24:
	s_endpgm
	.section	.rodata,"a",@progbits
	.p2align	6, 0x0
	.amdhsa_kernel fft_rtc_back_len70_factors_2_5_7_wgs_252_tpt_14_halfLds_half_op_CI_CI_unitstride_sbrr_dirReg
		.amdhsa_group_segment_fixed_size 0
		.amdhsa_private_segment_fixed_size 0
		.amdhsa_kernarg_size 104
		.amdhsa_user_sgpr_count 2
		.amdhsa_user_sgpr_dispatch_ptr 0
		.amdhsa_user_sgpr_queue_ptr 0
		.amdhsa_user_sgpr_kernarg_segment_ptr 1
		.amdhsa_user_sgpr_dispatch_id 0
		.amdhsa_user_sgpr_kernarg_preload_length 0
		.amdhsa_user_sgpr_kernarg_preload_offset 0
		.amdhsa_user_sgpr_private_segment_size 0
		.amdhsa_uses_dynamic_stack 0
		.amdhsa_enable_private_segment 0
		.amdhsa_system_sgpr_workgroup_id_x 1
		.amdhsa_system_sgpr_workgroup_id_y 0
		.amdhsa_system_sgpr_workgroup_id_z 0
		.amdhsa_system_sgpr_workgroup_info 0
		.amdhsa_system_vgpr_workitem_id 0
		.amdhsa_next_free_vgpr 38
		.amdhsa_next_free_sgpr 28
		.amdhsa_accum_offset 40
		.amdhsa_reserve_vcc 1
		.amdhsa_float_round_mode_32 0
		.amdhsa_float_round_mode_16_64 0
		.amdhsa_float_denorm_mode_32 3
		.amdhsa_float_denorm_mode_16_64 3
		.amdhsa_dx10_clamp 1
		.amdhsa_ieee_mode 1
		.amdhsa_fp16_overflow 0
		.amdhsa_tg_split 0
		.amdhsa_exception_fp_ieee_invalid_op 0
		.amdhsa_exception_fp_denorm_src 0
		.amdhsa_exception_fp_ieee_div_zero 0
		.amdhsa_exception_fp_ieee_overflow 0
		.amdhsa_exception_fp_ieee_underflow 0
		.amdhsa_exception_fp_ieee_inexact 0
		.amdhsa_exception_int_div_zero 0
	.end_amdhsa_kernel
	.text
.Lfunc_end0:
	.size	fft_rtc_back_len70_factors_2_5_7_wgs_252_tpt_14_halfLds_half_op_CI_CI_unitstride_sbrr_dirReg, .Lfunc_end0-fft_rtc_back_len70_factors_2_5_7_wgs_252_tpt_14_halfLds_half_op_CI_CI_unitstride_sbrr_dirReg
                                        ; -- End function
	.section	.AMDGPU.csdata,"",@progbits
; Kernel info:
; codeLenInByte = 3628
; NumSgprs: 34
; NumVgprs: 38
; NumAgprs: 0
; TotalNumVgprs: 38
; ScratchSize: 0
; MemoryBound: 0
; FloatMode: 240
; IeeeMode: 1
; LDSByteSize: 0 bytes/workgroup (compile time only)
; SGPRBlocks: 4
; VGPRBlocks: 4
; NumSGPRsForWavesPerEU: 34
; NumVGPRsForWavesPerEU: 38
; AccumOffset: 40
; Occupancy: 8
; WaveLimiterHint : 1
; COMPUTE_PGM_RSRC2:SCRATCH_EN: 0
; COMPUTE_PGM_RSRC2:USER_SGPR: 2
; COMPUTE_PGM_RSRC2:TRAP_HANDLER: 0
; COMPUTE_PGM_RSRC2:TGID_X_EN: 1
; COMPUTE_PGM_RSRC2:TGID_Y_EN: 0
; COMPUTE_PGM_RSRC2:TGID_Z_EN: 0
; COMPUTE_PGM_RSRC2:TIDIG_COMP_CNT: 0
; COMPUTE_PGM_RSRC3_GFX90A:ACCUM_OFFSET: 9
; COMPUTE_PGM_RSRC3_GFX90A:TG_SPLIT: 0
	.text
	.p2alignl 6, 3212836864
	.fill 256, 4, 3212836864
	.type	__hip_cuid_68cd1b887ed95a8e,@object ; @__hip_cuid_68cd1b887ed95a8e
	.section	.bss,"aw",@nobits
	.globl	__hip_cuid_68cd1b887ed95a8e
__hip_cuid_68cd1b887ed95a8e:
	.byte	0                               ; 0x0
	.size	__hip_cuid_68cd1b887ed95a8e, 1

	.ident	"AMD clang version 19.0.0git (https://github.com/RadeonOpenCompute/llvm-project roc-6.4.0 25133 c7fe45cf4b819c5991fe208aaa96edf142730f1d)"
	.section	".note.GNU-stack","",@progbits
	.addrsig
	.addrsig_sym __hip_cuid_68cd1b887ed95a8e
	.amdgpu_metadata
---
amdhsa.kernels:
  - .agpr_count:     0
    .args:
      - .actual_access:  read_only
        .address_space:  global
        .offset:         0
        .size:           8
        .value_kind:     global_buffer
      - .offset:         8
        .size:           8
        .value_kind:     by_value
      - .actual_access:  read_only
        .address_space:  global
        .offset:         16
        .size:           8
        .value_kind:     global_buffer
      - .actual_access:  read_only
        .address_space:  global
        .offset:         24
        .size:           8
        .value_kind:     global_buffer
      - .actual_access:  read_only
        .address_space:  global
        .offset:         32
        .size:           8
        .value_kind:     global_buffer
      - .offset:         40
        .size:           8
        .value_kind:     by_value
      - .actual_access:  read_only
        .address_space:  global
        .offset:         48
        .size:           8
        .value_kind:     global_buffer
      - .actual_access:  read_only
        .address_space:  global
        .offset:         56
        .size:           8
        .value_kind:     global_buffer
      - .offset:         64
        .size:           4
        .value_kind:     by_value
      - .actual_access:  read_only
        .address_space:  global
        .offset:         72
        .size:           8
        .value_kind:     global_buffer
      - .actual_access:  read_only
        .address_space:  global
        .offset:         80
        .size:           8
        .value_kind:     global_buffer
      - .actual_access:  read_only
        .address_space:  global
        .offset:         88
        .size:           8
        .value_kind:     global_buffer
      - .actual_access:  write_only
        .address_space:  global
        .offset:         96
        .size:           8
        .value_kind:     global_buffer
    .group_segment_fixed_size: 0
    .kernarg_segment_align: 8
    .kernarg_segment_size: 104
    .language:       OpenCL C
    .language_version:
      - 2
      - 0
    .max_flat_workgroup_size: 252
    .name:           fft_rtc_back_len70_factors_2_5_7_wgs_252_tpt_14_halfLds_half_op_CI_CI_unitstride_sbrr_dirReg
    .private_segment_fixed_size: 0
    .sgpr_count:     34
    .sgpr_spill_count: 0
    .symbol:         fft_rtc_back_len70_factors_2_5_7_wgs_252_tpt_14_halfLds_half_op_CI_CI_unitstride_sbrr_dirReg.kd
    .uniform_work_group_size: 1
    .uses_dynamic_stack: false
    .vgpr_count:     38
    .vgpr_spill_count: 0
    .wavefront_size: 64
amdhsa.target:   amdgcn-amd-amdhsa--gfx950
amdhsa.version:
  - 1
  - 2
...

	.end_amdgpu_metadata
